;; amdgpu-corpus repo=ROCm/rocFFT kind=compiled arch=gfx1030 opt=O3
	.text
	.amdgcn_target "amdgcn-amd-amdhsa--gfx1030"
	.amdhsa_code_object_version 6
	.protected	bluestein_single_fwd_len135_dim1_sp_op_CI_CI ; -- Begin function bluestein_single_fwd_len135_dim1_sp_op_CI_CI
	.globl	bluestein_single_fwd_len135_dim1_sp_op_CI_CI
	.p2align	8
	.type	bluestein_single_fwd_len135_dim1_sp_op_CI_CI,@function
bluestein_single_fwd_len135_dim1_sp_op_CI_CI: ; @bluestein_single_fwd_len135_dim1_sp_op_CI_CI
; %bb.0:
	s_load_dwordx4 s[16:19], s[4:5], 0x28
	v_mul_u32_u24_e32 v1, 0x1c72, v0
	s_mov_b32 s0, exec_lo
	v_lshrrev_b32_e32 v1, 16, v1
	v_mad_u64_u32 v[102:103], null, s6, 14, v[1:2]
	v_mov_b32_e32 v103, 0
	s_waitcnt lgkmcnt(0)
	v_cmpx_gt_u64_e64 s[16:17], v[102:103]
	s_cbranch_execz .LBB0_2
; %bb.1:
	s_clause 0x1
	s_load_dwordx4 s[0:3], s[4:5], 0x18
	s_load_dwordx4 s[8:11], s[4:5], 0x0
	v_mul_lo_u16 v1, v1, 9
	v_sub_nc_u16 v40, v0, v1
	v_and_b32_e32 v136, 0xffff, v40
	v_lshlrev_b32_e32 v60, 3, v136
	v_add_co_u32 v48, null, v136, 27
	s_waitcnt lgkmcnt(0)
	s_load_dwordx4 s[12:15], s[0:1], 0x0
	s_add_u32 s6, s8, 0x438
	s_addc_u32 s7, s9, 0
	s_clause 0x5
	global_load_dwordx2 v[74:75], v60, s[8:9] offset:216
	global_load_dwordx2 v[72:73], v60, s[8:9] offset:432
	;; [unrolled: 1-line block ×4, first 2 shown]
	global_load_dwordx2 v[82:83], v60, s[8:9]
	global_load_dwordx2 v[80:81], v60, s[8:9] offset:72
	v_and_b32_e32 v37, 0xff, v48
	v_add_co_u32 v44, null, v136, 18
	v_add_co_u32 v52, null, v136, 36
	v_mul_lo_u16 v39, 0xcd, v37
	v_and_b32_e32 v36, 0xff, v44
	v_mul_u32_u24_e32 v57, 5, v44
	v_and_b32_e32 v38, 0xff, v52
	v_mul_lo_u16 v36, 0xcd, v36
	v_mul_lo_u16 v45, 0xcd, v38
	s_waitcnt lgkmcnt(0)
	v_mad_u64_u32 v[0:1], null, s14, v102, 0
	v_mad_u64_u32 v[2:3], null, s12, v136, 0
	s_mul_i32 s1, s13, 0xd8
	s_mul_hi_u32 s14, s12, 0xd8
	s_mul_i32 s0, s12, 0xd8
	s_add_i32 s1, s14, s1
	v_mad_u64_u32 v[4:5], null, s15, v102, v[1:2]
	v_mad_u64_u32 v[5:6], null, s13, v136, v[3:4]
	v_mov_b32_e32 v1, v4
	s_mulk_i32 s13, 0xfce8
	s_sub_i32 s13, s13, s12
	v_lshlrev_b64 v[0:1], 3, v[0:1]
	v_mov_b32_e32 v3, v5
	v_add_co_u32 v0, vcc_lo, s18, v0
	v_lshlrev_b64 v[2:3], 3, v[2:3]
	v_add_co_ci_u32_e32 v1, vcc_lo, s19, v1, vcc_lo
	v_add_co_u32 v0, vcc_lo, v0, v2
	v_add_co_ci_u32_e32 v1, vcc_lo, v1, v3, vcc_lo
	v_add_co_u32 v2, vcc_lo, v0, s0
	v_add_co_ci_u32_e32 v3, vcc_lo, s1, v1, vcc_lo
	global_load_dwordx2 v[0:1], v[0:1], off
	v_add_co_u32 v6, vcc_lo, v2, s0
	v_add_co_ci_u32_e32 v7, vcc_lo, s1, v3, vcc_lo
	s_clause 0x1
	global_load_dwordx2 v[4:5], v[2:3], off
	global_load_dwordx2 v[2:3], v[6:7], off
	v_add_co_u32 v8, vcc_lo, v6, s0
	v_add_co_ci_u32_e32 v9, vcc_lo, s1, v7, vcc_lo
	global_load_dwordx2 v[84:85], v60, s[8:9] offset:288
	v_add_co_u32 v12, vcc_lo, v8, s0
	v_add_co_ci_u32_e32 v13, vcc_lo, s1, v9, vcc_lo
	s_clause 0x1
	global_load_dwordx2 v[10:11], v[8:9], off
	global_load_dwordx2 v[6:7], v[12:13], off
	v_mad_u64_u32 v[14:15], null, 0xfffffce8, s12, v[12:13]
	v_add_nc_u32_e32 v15, s13, v15
	v_add_co_u32 v16, vcc_lo, v14, s0
	v_add_co_ci_u32_e32 v17, vcc_lo, s1, v15, vcc_lo
	v_add_co_u32 v18, vcc_lo, v16, s0
	global_load_dwordx2 v[8:9], v[14:15], off
	v_add_co_ci_u32_e32 v19, vcc_lo, s1, v17, vcc_lo
	v_add_co_u32 v20, vcc_lo, v18, s0
	s_clause 0x2
	global_load_dwordx2 v[86:87], v60, s[8:9] offset:504
	global_load_dwordx2 v[88:89], v60, s[8:9] offset:936
	;; [unrolled: 1-line block ×3, first 2 shown]
	v_add_co_ci_u32_e32 v21, vcc_lo, s1, v19, vcc_lo
	v_add_co_u32 v14, vcc_lo, v20, s0
	global_load_dwordx2 v[92:93], v60, s[8:9] offset:360
	global_load_dwordx2 v[12:13], v[16:17], off
	s_clause 0x1
	global_load_dwordx2 v[94:95], v60, s[8:9] offset:720
	global_load_dwordx2 v[96:97], v60, s[8:9] offset:792
	global_load_dwordx2 v[28:29], v[18:19], off
	global_load_dwordx2 v[98:99], v60, s[8:9] offset:576
	global_load_dwordx2 v[26:27], v[20:21], off
	v_add_co_ci_u32_e32 v15, vcc_lo, s1, v21, vcc_lo
	v_mad_u64_u32 v[22:23], null, 0xfffffce8, s12, v[14:15]
	global_load_dwordx2 v[24:25], v[14:15], off
	v_add_nc_u32_e32 v23, s13, v23
	v_add_co_u32 v14, vcc_lo, v22, s0
	v_add_co_ci_u32_e32 v15, vcc_lo, s1, v23, vcc_lo
	v_add_co_u32 v16, vcc_lo, v14, s0
	global_load_dwordx2 v[18:19], v[22:23], off
	v_add_co_ci_u32_e32 v17, vcc_lo, s1, v15, vcc_lo
	v_add_co_u32 v22, vcc_lo, v16, s0
	global_load_dwordx2 v[20:21], v[14:15], off
	;; [unrolled: 3-line block ×3, first 2 shown]
	v_add_co_ci_u32_e32 v31, vcc_lo, s1, v23, vcc_lo
	global_load_dwordx2 v[16:17], v[22:23], off
	global_load_dwordx2 v[100:101], v60, s[8:9] offset:1008
	global_load_dwordx2 v[22:23], v[30:31], off
	v_lshrrev_b32_e32 v30, 1, v102
	v_mul_lo_u16 v31, v40, 5
	v_add_co_u32 v33, s0, v136, -5
	v_cmp_gt_u16_e32 vcc_lo, 5, v40
	v_mul_hi_u32 v30, 0x92492493, v30
	v_and_b32_e32 v32, 0xffff, v31
	v_add_co_ci_u32_e64 v31, null, 0, -1, s0
	v_add_co_u32 v41, s0, v136, 9
	v_add_co_ci_u32_e64 v34, null, 0, 0, s0
	v_lshrrev_b32_e32 v30, 2, v30
	v_cndmask_b32_e64 v31, v31, 0, vcc_lo
	s_load_dwordx4 s[0:3], s[2:3], 0x0
	v_mul_u32_u24_e32 v51, 5, v41
	v_mul_lo_u32 v35, v30, 14
	v_cndmask_b32_e32 v30, v33, v136, vcc_lo
	v_and_b32_e32 v33, 0xff, v41
	v_lshlrev_b64 v[42:43], 4, v[30:31]
	v_mul_lo_u16 v33, 0xcd, v33
	v_sub_nc_u32_e32 v46, v102, v35
	v_lshrrev_b16 v35, 10, v39
	v_lshrrev_b16 v31, 10, v33
	v_mul_u32_u24_e32 v39, 0x87, v46
	v_add_co_u32 v46, vcc_lo, s10, v42
	v_add_co_ci_u32_e32 v47, vcc_lo, s11, v43, vcc_lo
	v_mul_lo_u16 v43, v31, 5
	v_lshlrev_b32_e32 v42, 3, v39
	v_lshrrev_b16 v33, 10, v36
	v_lshrrev_b16 v36, 10, v45
	v_mul_lo_u16 v58, v35, 5
	v_sub_nc_u16 v39, v41, v43
	v_add_nc_u32_e32 v135, v60, v42
	v_mul_lo_u16 v45, v33, 5
	v_mul_lo_u16 v59, v36, 5
	v_lshl_add_u32 v138, v51, 3, v42
	v_lshl_add_u32 v137, v57, 3, v42
	;; [unrolled: 1-line block ×3, first 2 shown]
	v_sub_nc_u16 v45, v44, v45
	v_cmp_gt_u16_e32 vcc_lo, 6, v40
	s_waitcnt vmcnt(23)
	v_mul_f32_e32 v49, v1, v83
	v_mul_f32_e32 v43, v0, v83
	v_fmac_f32_e32 v49, v0, v82
	s_waitcnt vmcnt(22)
	v_mul_f32_e32 v53, v5, v75
	s_waitcnt vmcnt(21)
	v_mul_f32_e32 v55, v3, v73
	v_mul_f32_e32 v50, v4, v75
	;; [unrolled: 1-line block ×3, first 2 shown]
	v_fmac_f32_e32 v53, v4, v74
	v_fmac_f32_e32 v55, v2, v72
	v_fma_f32 v54, v5, v74, -v50
	v_fma_f32 v50, v1, v82, -v43
	;; [unrolled: 1-line block ×3, first 2 shown]
	ds_write_b64 v135, v[53:54] offset:216
	ds_write_b64 v135, v[55:56] offset:432
	s_waitcnt vmcnt(19)
	v_mul_f32_e32 v0, v11, v79
	v_mul_f32_e32 v2, v10, v79
	s_waitcnt vmcnt(18)
	v_mul_f32_e32 v3, v6, v77
	v_sub_nc_u16 v54, v52, v59
	v_sub_nc_u16 v53, v48, v58
	v_fmac_f32_e32 v0, v10, v78
	v_fma_f32 v1, v11, v78, -v2
	v_mul_f32_e32 v2, v7, v77
	v_fma_f32 v3, v7, v76, -v3
	v_lshlrev_b16 v32, 1, v53
	ds_write_b64 v135, v[0:1] offset:648
	v_fmac_f32_e32 v2, v6, v76
	s_waitcnt vmcnt(17)
	v_mul_f32_e32 v5, v8, v81
	v_mul_f32_e32 v4, v9, v81
	ds_write_b64 v135, v[2:3] offset:864
	s_waitcnt vmcnt(12)
	v_mul_f32_e32 v0, v13, v85
	v_fma_f32 v5, v9, v80, -v5
	v_mul_f32_e32 v1, v12, v85
	v_fmac_f32_e32 v4, v8, v80
	s_waitcnt vmcnt(9)
	v_mul_f32_e32 v2, v29, v87
	v_fmac_f32_e32 v0, v12, v84
	v_mul_f32_e32 v3, v28, v87
	v_fma_f32 v1, v13, v84, -v1
	ds_write2_b64 v135, v[49:50], v[4:5] offset1:9
	s_waitcnt vmcnt(7)
	v_mul_f32_e32 v4, v27, v95
	v_mul_f32_e32 v5, v26, v95
	v_fmac_f32_e32 v2, v28, v86
	v_fma_f32 v3, v29, v86, -v3
	s_waitcnt vmcnt(6)
	v_mul_f32_e32 v6, v25, v89
	v_mul_f32_e32 v7, v24, v89
	v_fmac_f32_e32 v4, v26, v94
	v_fma_f32 v5, v27, v94, -v5
	v_fmac_f32_e32 v6, v24, v88
	v_fma_f32 v7, v25, v88, -v7
	s_waitcnt vmcnt(5)
	v_mul_f32_e32 v9, v18, v91
	v_mul_f32_e32 v8, v19, v91
	s_waitcnt vmcnt(4)
	v_mul_f32_e32 v10, v21, v93
	v_mul_f32_e32 v11, v20, v93
	v_fma_f32 v9, v19, v90, -v9
	v_fmac_f32_e32 v8, v18, v90
	s_waitcnt vmcnt(3)
	v_mul_f32_e32 v12, v15, v99
	v_fmac_f32_e32 v10, v20, v92
	v_mul_f32_e32 v13, v14, v99
	s_waitcnt vmcnt(2)
	v_mul_f32_e32 v19, v16, v97
	s_waitcnt vmcnt(0)
	v_mul_f32_e32 v20, v22, v101
	v_fmac_f32_e32 v12, v14, v98
	v_mul_f32_e32 v14, v17, v97
	v_mul_f32_e32 v18, v23, v101
	v_fma_f32 v13, v15, v98, -v13
	v_fma_f32 v15, v17, v96, -v19
	;; [unrolled: 1-line block ×3, first 2 shown]
	v_lshlrev_b16 v20, 1, v39
	v_fma_f32 v11, v21, v92, -v11
	v_lshlrev_b16 v21, 1, v45
	v_fmac_f32_e32 v14, v16, v96
	v_fmac_f32_e32 v18, v22, v100
	v_and_b32_e32 v28, 0xfe, v20
	ds_write_b64 v135, v[8:9] offset:144
	ds_write2_b64 v135, v[0:1], v[10:11] offset0:36 offset1:45
	ds_write2_b64 v135, v[2:3], v[12:13] offset0:63 offset1:72
	;; [unrolled: 1-line block ×4, first 2 shown]
	s_waitcnt lgkmcnt(0)
	s_barrier
	buffer_gl0_inv
	ds_read2_b64 v[0:3], v135 offset1:9
	ds_read2_b64 v[4:7], v135 offset0:18 offset1:27
	ds_read2_b64 v[8:11], v135 offset0:54 offset1:63
	;; [unrolled: 1-line block ×4, first 2 shown]
	v_and_b32_e32 v43, 0xfe, v21
	ds_read2_b64 v[20:23], v135 offset0:36 offset1:45
	ds_read2_b64 v[24:27], v135 offset0:90 offset1:99
	v_lshlrev_b32_e32 v49, 3, v28
	ds_read_b64 v[28:29], v135 offset:1008
	s_waitcnt lgkmcnt(0)
	s_barrier
	buffer_gl0_inv
	v_add_f32_e32 v50, v0, v6
	v_add_f32_e32 v62, v1, v7
	;; [unrolled: 1-line block ×6, first 2 shown]
	v_sub_f32_e32 v65, v7, v9
	v_sub_f32_e32 v66, v9, v7
	v_add_f32_e32 v67, v2, v20
	v_add_f32_e32 v68, v10, v24
	v_sub_f32_e32 v69, v21, v19
	v_sub_f32_e32 v71, v20, v10
	v_add_f32_e32 v103, v20, v18
	v_sub_f32_e32 v104, v10, v20
	v_add_f32_e32 v105, v3, v21
	v_add_f32_e32 v106, v11, v25
	v_sub_f32_e32 v107, v20, v18
	v_sub_f32_e32 v20, v21, v11
	v_add_f32_e32 v109, v21, v19
	v_sub_f32_e32 v21, v11, v21
	v_add_f32_e32 v110, v4, v22
	v_add_f32_e32 v115, v5, v23
	v_sub_f32_e32 v119, v17, v15
	v_sub_f32_e32 v121, v15, v17
	;; [unrolled: 1-line block ×7, first 2 shown]
	v_add_f32_e32 v113, v22, v28
	v_add_f32_e32 v117, v23, v29
	v_sub_f32_e32 v123, v6, v16
	v_add_f32_e32 v127, v12, v26
	v_add_f32_e32 v130, v13, v27
	v_fma_f32 v6, -0.5, v51, v0
	v_fma_f32 v7, -0.5, v63, v1
	v_sub_f32_e32 v56, v9, v15
	v_sub_f32_e32 v64, v8, v14
	v_add_f32_e32 v50, v50, v8
	v_add_f32_e32 v62, v62, v9
	v_fma_f32 v0, -0.5, v59, v0
	v_fma_f32 v1, -0.5, v120, v1
	v_add_f32_e32 v51, v65, v119
	v_add_f32_e32 v59, v66, v121
	v_fma_f32 v8, -0.5, v68, v2
	v_fma_f32 v9, -0.5, v106, v3
	v_add_f32_e32 v65, v20, v125
	v_add_f32_e32 v66, v21, v126
	;; [unrolled: 1-line block ×4, first 2 shown]
	v_sub_f32_e32 v70, v11, v25
	v_sub_f32_e32 v108, v10, v24
	;; [unrolled: 1-line block ×11, first 2 shown]
	v_fma_f32 v2, -0.5, v103, v2
	v_fmac_f32_e32 v3, -0.5, v109
	v_sub_f32_e32 v58, v16, v14
	v_sub_f32_e32 v133, v13, v27
	;; [unrolled: 1-line block ×3, first 2 shown]
	v_add_f32_e32 v67, v67, v10
	v_add_f32_e32 v105, v105, v11
	v_fma_f32 v10, -0.5, v127, v4
	v_fma_f32 v11, -0.5, v130, v5
	v_fmac_f32_e32 v5, -0.5, v117
	v_fma_f32 v4, -0.5, v113, v4
	v_fmamk_f32 v12, v55, 0x3f737871, v6
	v_fmamk_f32 v13, v123, 0xbf737871, v7
	v_sub_f32_e32 v118, v14, v16
	v_add_f32_e32 v50, v50, v14
	v_add_f32_e32 v62, v62, v15
	v_fmamk_f32 v14, v56, 0xbf737871, v0
	v_fmac_f32_e32 v0, 0x3f737871, v56
	v_fmamk_f32 v15, v64, 0x3f737871, v1
	v_fmac_f32_e32 v1, 0xbf737871, v64
	v_fmac_f32_e32 v6, 0xbf737871, v55
	;; [unrolled: 1-line block ×3, first 2 shown]
	v_sub_f32_e32 v122, v18, v24
	v_add_f32_e32 v106, v20, v26
	v_add_f32_e32 v109, v21, v27
	v_fmamk_f32 v20, v69, 0x3f737871, v8
	v_fmamk_f32 v21, v107, 0xbf737871, v9
	v_add_f32_e32 v63, v104, v124
	v_add_f32_e32 v103, v22, v131
	;; [unrolled: 1-line block ×3, first 2 shown]
	v_fmamk_f32 v22, v70, 0xbf737871, v2
	v_fmac_f32_e32 v2, 0x3f737871, v70
	v_fmamk_f32 v23, v108, 0x3f737871, v3
	v_fmac_f32_e32 v3, 0xbf737871, v108
	v_sub_f32_e32 v128, v28, v26
	v_sub_f32_e32 v129, v26, v28
	v_add_f32_e32 v57, v57, v58
	v_add_f32_e32 v67, v67, v24
	;; [unrolled: 1-line block ×3, first 2 shown]
	v_fmac_f32_e32 v8, 0xbf737871, v69
	v_fmac_f32_e32 v9, 0x3f737871, v107
	v_fmamk_f32 v24, v111, 0x3f737871, v10
	v_fmac_f32_e32 v10, 0xbf737871, v111
	v_fmamk_f32 v26, v133, 0xbf737871, v4
	;; [unrolled: 2-line block ×4, first 2 shown]
	v_fmac_f32_e32 v5, 0xbf737871, v134
	v_fmac_f32_e32 v12, 0x3f167918, v56
	;; [unrolled: 1-line block ×3, first 2 shown]
	v_add_f32_e32 v58, v61, v118
	v_fmac_f32_e32 v14, 0x3f167918, v55
	v_fmac_f32_e32 v0, 0xbf167918, v55
	;; [unrolled: 1-line block ×6, first 2 shown]
	v_add_f32_e32 v61, v71, v122
	v_fmac_f32_e32 v20, 0x3f167918, v70
	v_fmac_f32_e32 v21, 0xbf167918, v108
	;; [unrolled: 1-line block ×6, first 2 shown]
	v_add_f32_e32 v68, v112, v128
	v_add_f32_e32 v71, v114, v129
	;; [unrolled: 1-line block ×4, first 2 shown]
	v_fmac_f32_e32 v8, 0xbf167918, v70
	v_fmac_f32_e32 v9, 0x3f167918, v108
	v_fmac_f32_e32 v24, 0x3f167918, v133
	v_fmac_f32_e32 v10, 0xbf167918, v133
	v_fmac_f32_e32 v26, 0x3f167918, v111
	v_fmac_f32_e32 v4, 0xbf167918, v111
	v_fmac_f32_e32 v25, 0xbf167918, v134
	v_fmac_f32_e32 v11, 0x3f167918, v134
	v_fmac_f32_e32 v27, 0xbf167918, v116
	v_fmac_f32_e32 v5, 0x3f167918, v116
	v_fmac_f32_e32 v12, 0x3e9e377a, v57
	v_fmac_f32_e32 v13, 0x3e9e377a, v51
	v_fmac_f32_e32 v14, 0x3e9e377a, v58
	v_fmac_f32_e32 v0, 0x3e9e377a, v58
	v_fmac_f32_e32 v15, 0x3e9e377a, v59
	v_fmac_f32_e32 v1, 0x3e9e377a, v59
	v_fmac_f32_e32 v6, 0x3e9e377a, v57
	v_fmac_f32_e32 v7, 0x3e9e377a, v51
	v_add_f32_e32 v18, v67, v18
	v_add_f32_e32 v19, v105, v19
	v_fmac_f32_e32 v20, 0x3e9e377a, v61
	v_fmac_f32_e32 v21, 0x3e9e377a, v65
	;; [unrolled: 1-line block ×6, first 2 shown]
	v_add_f32_e32 v28, v106, v28
	v_add_f32_e32 v29, v109, v29
	v_fmac_f32_e32 v8, 0x3e9e377a, v61
	v_fmac_f32_e32 v9, 0x3e9e377a, v65
	;; [unrolled: 1-line block ×10, first 2 shown]
	ds_write2_b64 v139, v[16:17], v[12:13] offset1:1
	ds_write2_b64 v139, v[14:15], v[0:1] offset0:2 offset1:3
	ds_write_b64 v139, v[6:7] offset:32
	ds_write2_b64 v138, v[18:19], v[20:21] offset1:1
	ds_write2_b64 v138, v[22:23], v[2:3] offset0:2 offset1:3
	ds_write_b64 v138, v[8:9] offset:32
	ds_write2_b64 v137, v[28:29], v[24:25] offset1:1
	ds_write_b64 v137, v[10:11] offset:32
	ds_write2_b64 v137, v[26:27], v[4:5] offset0:2 offset1:3
	v_lshlrev_b16 v0, 1, v54
	v_and_b32_e32 v1, 0xfe, v32
	v_lshlrev_b32_e32 v2, 3, v43
	s_waitcnt lgkmcnt(0)
	s_barrier
	v_and_b32_e32 v0, 0xfe, v0
	v_lshlrev_b32_e32 v1, 3, v1
	buffer_gl0_inv
	s_clause 0x2
	global_load_dwordx4 v[16:19], v[46:47], off
	global_load_dwordx4 v[12:15], v49, s[10:11]
	global_load_dwordx4 v[8:11], v2, s[10:11]
	v_lshlrev_b32_e32 v0, 3, v0
	s_clause 0x1
	global_load_dwordx4 v[4:7], v1, s[10:11]
	global_load_dwordx4 v[0:3], v0, s[10:11]
	v_add_co_u32 v20, s12, v136, -6
	v_add_co_ci_u32_e64 v21, null, 0, -1, s12
	v_mul_lo_u16 v22, 0x89, v37
	v_cndmask_b32_e32 v46, v20, v41, vcc_lo
	v_mul_lo_u16 v20, 0x89, v38
	v_cndmask_b32_e32 v47, v21, v34, vcc_lo
	v_cmp_lt_u16_e32 vcc_lo, 4, v40
	v_lshrrev_b16 v59, 11, v22
	v_mad_u16 v28, v33, 15, v45
	v_lshrrev_b16 v24, 11, v20
	v_lshlrev_b64 v[20:21], 4, v[46:47]
	v_cndmask_b32_e64 v23, 0, 15, vcc_lo
	v_mad_u16 v32, v35, 15, v53
	v_mad_u16 v33, v36, 15, v54
	v_and_b32_e32 v35, 0xff, v28
	v_mov_b32_e32 v51, 4
	v_add_nc_u32_e32 v22, v30, v23
	v_mul_lo_u16 v23, v24, 15
	v_mul_lo_u16 v24, v59, 15
	v_add_co_u32 v49, vcc_lo, s10, v20
	v_and_b32_e32 v36, 0xff, v32
	v_and_b32_e32 v53, 0xff, v33
	v_sub_nc_u16 v65, v48, v24
	v_mad_u16 v24, v31, 15, v39
	v_add_co_ci_u32_e32 v50, vcc_lo, s11, v21, vcc_lo
	v_sub_nc_u16 v47, v52, v23
	v_lshl_add_u32 v140, v22, 3, v42
	v_and_b32_e32 v34, 0xff, v24
	ds_read2_b64 v[20:23], v135 offset0:36 offset1:45
	ds_read2_b64 v[24:27], v135 offset0:90 offset1:99
	;; [unrolled: 1-line block ×3, first 2 shown]
	v_lshl_add_u32 v141, v35, 3, v42
	v_lshl_add_u32 v144, v34, 3, v42
	ds_read2_b64 v[32:35], v135 offset0:108 offset1:117
	v_lshl_add_u32 v142, v36, 3, v42
	ds_read2_b64 v[36:39], v135 offset0:72 offset1:81
	v_lshl_add_u32 v143, v53, 3, v42
	ds_read2_b64 v[53:56], v135 offset1:9
	ds_read2_b64 v[61:64], v135 offset0:18 offset1:27
	ds_read_b64 v[57:58], v135 offset:1008
	v_lshlrev_b16 v45, 4, v47
	s_waitcnt vmcnt(0) lgkmcnt(0)
	s_barrier
	buffer_gl0_inv
	v_lshlrev_b32_e32 v43, 4, v136
	v_cmp_lt_u16_e32 vcc_lo, 5, v40
	v_lshlrev_b32_e32 v52, 4, v52
	v_cndmask_b32_e64 v40, 0, 45, vcc_lo
	v_add_nc_u32_e32 v40, v46, v40
	v_and_b32_e32 v46, 0xff, v47
	v_lshlrev_b32_e32 v47, 4, v41
	v_lshl_add_u32 v147, v40, 3, v42
	v_lshl_add_u32 v145, v46, 3, v42
	v_mul_f32_e32 v66, v23, v17
	v_mul_f32_e32 v67, v22, v17
	;; [unrolled: 1-line block ×20, first 2 shown]
	v_fma_f32 v24, v24, v18, -v68
	v_fmac_f32_e32 v69, v25, v18
	v_fma_f32 v22, v22, v16, -v66
	v_fmac_f32_e32 v67, v23, v16
	;; [unrolled: 2-line block ×6, first 2 shown]
	v_fma_f32 v32, v34, v6, -v111
	v_fma_f32 v29, v38, v0, -v113
	;; [unrolled: 1-line block ×4, first 2 shown]
	v_fmac_f32_e32 v110, v37, v4
	v_fmac_f32_e32 v112, v35, v6
	v_fmac_f32_e32 v114, v39, v0
	v_fmac_f32_e32 v116, v58, v2
	v_add_f32_e32 v31, v22, v24
	v_add_f32_e32 v35, v67, v69
	;; [unrolled: 1-line block ×8, first 2 shown]
	v_sub_f32_e32 v37, v67, v69
	v_add_f32_e32 v33, v54, v67
	v_sub_f32_e32 v38, v22, v24
	v_add_f32_e32 v36, v55, v23
	;; [unrolled: 2-line block ×3, first 2 shown]
	v_add_f32_e32 v68, v61, v26
	v_sub_f32_e32 v71, v106, v108
	v_add_f32_e32 v103, v62, v106
	v_sub_f32_e32 v106, v26, v28
	v_add_f32_e32 v107, v63, v27
	v_add_f32_e32 v109, v27, v32
	v_sub_f32_e32 v111, v110, v112
	v_add_f32_e32 v113, v64, v110
	v_add_f32_e32 v110, v110, v112
	v_sub_f32_e32 v115, v27, v32
	v_sub_f32_e32 v119, v114, v116
	v_add_f32_e32 v120, v21, v114
	v_add_f32_e32 v114, v114, v116
	v_fma_f32 v26, -0.5, v31, v53
	v_fma_f32 v27, -0.5, v35, v54
	v_sub_f32_e32 v67, v23, v25
	v_fma_f32 v55, -0.5, v39, v55
	v_fmac_f32_e32 v56, -0.5, v66
	v_add_f32_e32 v117, v20, v29
	v_add_f32_e32 v22, v30, v24
	v_fma_f32 v30, -0.5, v70, v61
	v_fma_f32 v31, -0.5, v105, v62
	;; [unrolled: 1-line block ×3, first 2 shown]
	v_sub_f32_e32 v121, v29, v34
	v_add_f32_e32 v23, v33, v69
	v_add_f32_e32 v24, v36, v25
	v_fma_f32 v63, -0.5, v109, v63
	v_fmac_f32_e32 v64, -0.5, v110
	v_fmac_f32_e32 v21, -0.5, v114
	v_fmamk_f32 v36, v37, 0x3f5db3d7, v26
	v_fmac_f32_e32 v26, 0xbf5db3d7, v37
	v_fmamk_f32 v37, v38, 0xbf5db3d7, v27
	v_fmac_f32_e32 v27, 0x3f5db3d7, v38
	v_add_f32_e32 v25, v58, v104
	v_fmamk_f32 v38, v57, 0x3f5db3d7, v55
	v_fmamk_f32 v39, v67, 0xbf5db3d7, v56
	v_fmac_f32_e32 v55, 0xbf5db3d7, v57
	v_fmac_f32_e32 v56, 0x3f5db3d7, v67
	v_add_f32_e32 v28, v68, v28
	v_add_f32_e32 v29, v103, v108
	v_fmamk_f32 v53, v71, 0x3f5db3d7, v30
	v_fmamk_f32 v54, v106, 0xbf5db3d7, v31
	;; [unrolled: 1-line block ×3, first 2 shown]
	v_fmac_f32_e32 v20, 0xbf5db3d7, v119
	v_add_f32_e32 v32, v107, v32
	v_add_f32_e32 v33, v113, v112
	;; [unrolled: 1-line block ×4, first 2 shown]
	v_fmac_f32_e32 v30, 0xbf5db3d7, v71
	v_fmac_f32_e32 v31, 0x3f5db3d7, v106
	v_fmamk_f32 v57, v111, 0x3f5db3d7, v63
	v_fmac_f32_e32 v63, 0xbf5db3d7, v111
	v_fmamk_f32 v58, v115, 0xbf5db3d7, v64
	;; [unrolled: 2-line block ×3, first 2 shown]
	v_fmac_f32_e32 v21, 0x3f5db3d7, v121
	ds_write2_b64 v140, v[22:23], v[36:37] offset1:5
	ds_write_b64 v140, v[26:27] offset:80
	ds_write2_b64 v144, v[24:25], v[38:39] offset1:5
	ds_write_b64 v144, v[55:56] offset:80
	;; [unrolled: 2-line block ×5, first 2 shown]
	v_and_b32_e32 v20, 0xf0, v45
	v_lshlrev_b32_sdwa v22, v51, v65 dst_sel:DWORD dst_unused:UNUSED_PAD src0_sel:DWORD src1_sel:BYTE_0
	s_waitcnt lgkmcnt(0)
	s_barrier
	buffer_gl0_inv
	v_add_co_u32 v20, s12, s10, v20
	s_clause 0x2
	global_load_dwordx4 v[32:35], v43, s[10:11] offset:80
	global_load_dwordx4 v[24:27], v43, s[10:11] offset:128
	global_load_dwordx4 v[36:39], v[49:50], off offset:80
	v_add_co_ci_u32_e64 v21, null, s11, 0, s12
	s_clause 0x1
	global_load_dwordx4 v[28:31], v22, s[10:11] offset:80
	global_load_dwordx4 v[20:23], v[20:21], off offset:80
	v_mov_b32_e32 v45, 45
	ds_read2_b64 v[53:56], v135 offset0:90 offset1:99
	ds_read2_b64 v[61:64], v135 offset0:54 offset1:63
	v_mul_u32_u24_sdwa v45, v59, v45 dst_sel:DWORD dst_unused:UNUSED_PAD src0_sel:WORD_0 src1_sel:DWORD
	v_add_nc_u32_sdwa v45, v45, v65 dst_sel:DWORD dst_unused:UNUSED_PAD src0_sel:DWORD src1_sel:BYTE_0
	ds_read2_b64 v[65:68], v135 offset0:108 offset1:117
	ds_read2_b64 v[103:106], v135 offset0:72 offset1:81
	ds_read2_b64 v[107:110], v135 offset1:9
	ds_read2_b64 v[111:114], v135 offset0:36 offset1:45
	ds_read_b64 v[40:41], v135 offset:1008
	ds_read2_b64 v[115:118], v135 offset0:18 offset1:27
	s_waitcnt vmcnt(0) lgkmcnt(0)
	s_barrier
	v_lshl_add_u32 v146, v45, 3, v42
	buffer_gl0_inv
	v_mul_f32_e32 v42, v54, v35
	v_mul_f32_e32 v45, v53, v35
	;; [unrolled: 1-line block ×20, first 2 shown]
	v_fma_f32 v42, v53, v34, -v42
	v_fmac_f32_e32 v45, v54, v34
	v_fma_f32 v53, v55, v38, -v46
	v_fma_f32 v46, v61, v36, -v50
	v_fmac_f32_e32 v51, v62, v36
	v_fma_f32 v50, v63, v24, -v57
	v_fmac_f32_e32 v58, v64, v24
	;; [unrolled: 2-line block ×3, first 2 shown]
	v_fmac_f32_e32 v123, v114, v32
	v_fma_f32 v59, v113, v32, -v124
	v_fmac_f32_e32 v49, v56, v38
	v_fma_f32 v56, v103, v28, -v119
	v_fma_f32 v57, v105, v20, -v121
	;; [unrolled: 1-line block ×3, first 2 shown]
	v_fmac_f32_e32 v71, v68, v30
	v_fmac_f32_e32 v120, v104, v28
	;; [unrolled: 1-line block ×3, first 2 shown]
	v_fma_f32 v61, v40, v22, -v125
	v_fmac_f32_e32 v126, v41, v22
	v_add_f32_e32 v63, v123, v45
	v_add_f32_e32 v64, v59, v42
	v_add_f32_e32 v66, v110, v51
	v_add_f32_e32 v104, v116, v58
	v_sub_f32_e32 v105, v58, v69
	v_add_f32_e32 v106, v58, v69
	v_add_f32_e32 v58, v115, v50
	v_sub_f32_e32 v67, v51, v49
	v_add_f32_e32 v51, v51, v49
	v_add_f32_e32 v70, v46, v53
	v_add_f32_e32 v40, v108, v123
	v_add_f32_e32 v62, v107, v59
	v_add_f32_e32 v68, v109, v46
	v_add_f32_e32 v113, v50, v54
	v_add_f32_e32 v121, v117, v56
	v_add_f32_e32 v129, v111, v57
	v_sub_f32_e32 v65, v123, v45
	v_sub_f32_e32 v59, v59, v42
	;; [unrolled: 1-line block ×3, first 2 shown]
	v_add_f32_e32 v119, v118, v120
	v_sub_f32_e32 v123, v120, v71
	v_add_f32_e32 v120, v120, v71
	v_add_f32_e32 v124, v112, v122
	;; [unrolled: 1-line block ×3, first 2 shown]
	v_sub_f32_e32 v128, v122, v126
	v_add_f32_e32 v122, v122, v126
	v_add_f32_e32 v130, v57, v61
	v_sub_f32_e32 v131, v57, v61
	v_add_f32_e32 v46, v66, v49
	v_add_f32_e32 v49, v58, v54
	v_fma_f32 v57, -0.5, v64, v107
	v_fma_f32 v58, -0.5, v63, v108
	;; [unrolled: 1-line block ×3, first 2 shown]
	v_fmac_f32_e32 v110, -0.5, v51
	v_sub_f32_e32 v114, v50, v54
	v_sub_f32_e32 v127, v56, v55
	v_add_f32_e32 v41, v40, v45
	v_add_f32_e32 v40, v62, v42
	;; [unrolled: 1-line block ×5, first 2 shown]
	v_fma_f32 v61, -0.5, v113, v115
	v_fma_f32 v62, -0.5, v106, v116
	v_fma_f32 v117, -0.5, v125, v117
	v_fmac_f32_e32 v118, -0.5, v120
	v_fma_f32 v111, -0.5, v130, v111
	v_fmac_f32_e32 v112, -0.5, v122
	v_fmamk_f32 v63, v65, 0x3f5db3d7, v57
	v_fmamk_f32 v64, v59, 0xbf5db3d7, v58
	v_fmac_f32_e32 v57, 0xbf5db3d7, v65
	v_fmac_f32_e32 v58, 0x3f5db3d7, v59
	v_fmamk_f32 v65, v67, 0x3f5db3d7, v109
	v_fmamk_f32 v66, v103, 0xbf5db3d7, v110
	v_fmac_f32_e32 v109, 0xbf5db3d7, v67
	v_fmac_f32_e32 v110, 0x3f5db3d7, v103
	v_add_f32_e32 v50, v104, v69
	v_fmamk_f32 v67, v105, 0x3f5db3d7, v61
	v_fmamk_f32 v68, v114, 0xbf5db3d7, v62
	v_add_f32_e32 v54, v119, v71
	v_add_f32_e32 v56, v124, v126
	v_fmac_f32_e32 v61, 0xbf5db3d7, v105
	v_fmac_f32_e32 v62, 0x3f5db3d7, v114
	v_fmamk_f32 v69, v123, 0x3f5db3d7, v117
	v_fmac_f32_e32 v117, 0xbf5db3d7, v123
	v_fmamk_f32 v70, v127, 0xbf5db3d7, v118
	;; [unrolled: 2-line block ×4, first 2 shown]
	v_fmac_f32_e32 v112, 0x3f5db3d7, v131
	ds_write2_b64 v135, v[40:41], v[63:64] offset1:15
	ds_write_b64 v135, v[57:58] offset:240
	ds_write2_b64 v147, v[45:46], v[65:66] offset1:15
	ds_write_b64 v147, v[109:110] offset:240
	ds_write2_b64 v135, v[49:50], v[67:68] offset0:48 offset1:63
	ds_write_b64 v135, v[61:62] offset:624
	ds_write2_b64 v146, v[53:54], v[69:70] offset1:15
	ds_write_b64 v146, v[117:118] offset:240
	ds_write2_b64 v145, v[55:56], v[103:104] offset0:90 offset1:105
	ds_write_b64 v145, v[111:112] offset:960
	s_waitcnt lgkmcnt(0)
	s_barrier
	buffer_gl0_inv
	global_load_dwordx4 v[40:43], v43, s[10:11] offset:320
	v_lshlrev_b32_e32 v49, 4, v44
	global_load_dwordx4 v[44:47], v47, s[10:11] offset:320
	v_lshlrev_b32_e32 v53, 4, v48
	s_clause 0x2
	global_load_dwordx4 v[48:51], v49, s[10:11] offset:320
	global_load_dwordx4 v[56:59], v53, s[10:11] offset:320
	;; [unrolled: 1-line block ×3, first 2 shown]
	ds_read2_b64 v[61:64], v135 offset0:90 offset1:99
	ds_read2_b64 v[65:68], v135 offset0:54 offset1:63
	;; [unrolled: 1-line block ×5, first 2 shown]
	ds_read2_b64 v[115:118], v135 offset1:9
	ds_read_b64 v[69:70], v135 offset:1008
	ds_read2_b64 v[119:122], v135 offset0:18 offset1:27
	s_waitcnt vmcnt(4) lgkmcnt(7)
	v_mul_f32_e32 v71, v62, v43
	s_waitcnt lgkmcnt(3)
	v_mul_f32_e32 v151, v113, v41
	s_waitcnt vmcnt(3)
	v_mul_f32_e32 v127, v65, v45
	v_mul_f32_e32 v152, v114, v41
	;; [unrolled: 1-line block ×6, first 2 shown]
	s_waitcnt vmcnt(2)
	v_mul_f32_e32 v128, v68, v49
	v_mul_f32_e32 v129, v67, v49
	;; [unrolled: 1-line block ×4, first 2 shown]
	s_waitcnt vmcnt(1)
	v_mul_f32_e32 v132, v106, v59
	v_mul_f32_e32 v133, v105, v59
	;; [unrolled: 1-line block ×4, first 2 shown]
	s_waitcnt vmcnt(0)
	v_mul_f32_e32 v149, v110, v53
	v_mul_f32_e32 v150, v109, v53
	s_waitcnt lgkmcnt(1)
	v_mul_f32_e32 v153, v70, v55
	v_mul_f32_e32 v154, v69, v55
	v_fma_f32 v61, v61, v42, -v71
	v_fmac_f32_e32 v127, v66, v44
	v_fmac_f32_e32 v151, v114, v40
	v_fma_f32 v66, v113, v40, -v152
	v_fmac_f32_e32 v123, v62, v42
	v_fma_f32 v71, v63, v46, -v125
	;; [unrolled: 2-line block ×3, first 2 shown]
	v_fma_f32 v63, v67, v48, -v128
	v_fmac_f32_e32 v129, v68, v48
	v_fma_f32 v67, v103, v50, -v130
	v_fmac_f32_e32 v131, v104, v50
	;; [unrolled: 2-line block ×6, first 2 shown]
	v_add_f32_e32 v68, v116, v151
	v_add_f32_e32 v104, v66, v61
	;; [unrolled: 1-line block ×5, first 2 shown]
	v_sub_f32_e32 v109, v151, v123
	v_add_f32_e32 v70, v115, v66
	v_sub_f32_e32 v110, v66, v61
	v_add_f32_e32 v66, v117, v62
	v_add_f32_e32 v106, v118, v127
	v_sub_f32_e32 v113, v127, v126
	v_sub_f32_e32 v114, v62, v71
	v_add_f32_e32 v124, v63, v67
	s_waitcnt lgkmcnt(0)
	v_add_f32_e32 v127, v119, v63
	v_add_f32_e32 v128, v129, v131
	;; [unrolled: 1-line block ×4, first 2 shown]
	v_sub_f32_e32 v134, v63, v67
	v_sub_f32_e32 v149, v148, v133
	v_add_f32_e32 v148, v148, v133
	v_add_f32_e32 v151, v64, v103
	;; [unrolled: 1-line block ×3, first 2 shown]
	v_sub_f32_e32 v155, v150, v154
	v_add_f32_e32 v150, v150, v154
	v_add_f32_e32 v62, v68, v123
	;; [unrolled: 1-line block ×3, first 2 shown]
	v_fma_f32 v63, -0.5, v104, v115
	v_add_f32_e32 v115, v65, v105
	v_sub_f32_e32 v152, v64, v103
	v_fma_f32 v64, -0.5, v69, v116
	v_fma_f32 v117, -0.5, v108, v117
	v_fmac_f32_e32 v118, -0.5, v107
	v_add_f32_e32 v125, v120, v129
	v_sub_f32_e32 v129, v129, v131
	v_sub_f32_e32 v156, v65, v105
	v_add_f32_e32 v65, v66, v71
	v_add_f32_e32 v66, v106, v126
	;; [unrolled: 1-line block ×4, first 2 shown]
	v_fma_f32 v105, -0.5, v124, v119
	v_fma_f32 v106, -0.5, v128, v120
	;; [unrolled: 1-line block ×3, first 2 shown]
	v_fmac_f32_e32 v122, -0.5, v148
	v_fma_f32 v111, -0.5, v115, v111
	v_fmac_f32_e32 v112, -0.5, v150
	v_fmamk_f32 v107, v109, 0x3f5db3d7, v63
	v_fmamk_f32 v108, v110, 0xbf5db3d7, v64
	v_fmac_f32_e32 v63, 0xbf5db3d7, v109
	v_fmac_f32_e32 v64, 0x3f5db3d7, v110
	v_add_f32_e32 v61, v70, v61
	v_fmamk_f32 v109, v113, 0x3f5db3d7, v117
	v_fmac_f32_e32 v117, 0xbf5db3d7, v113
	v_fmamk_f32 v110, v114, 0xbf5db3d7, v118
	v_fmac_f32_e32 v118, 0x3f5db3d7, v114
	v_add_f32_e32 v104, v153, v154
	v_fmamk_f32 v113, v129, 0x3f5db3d7, v105
	v_fmamk_f32 v114, v134, 0xbf5db3d7, v106
	v_fmac_f32_e32 v105, 0xbf5db3d7, v129
	v_fmac_f32_e32 v106, 0x3f5db3d7, v134
	v_fmamk_f32 v115, v149, 0x3f5db3d7, v121
	v_fmac_f32_e32 v121, 0xbf5db3d7, v149
	v_fmamk_f32 v116, v152, 0xbf5db3d7, v122
	;; [unrolled: 2-line block ×4, first 2 shown]
	v_fmac_f32_e32 v112, 0x3f5db3d7, v156
	v_add_f32_e32 v68, v125, v131
	v_add_f32_e32 v67, v127, v67
	v_add_f32_e32 v70, v130, v133
	ds_write_b64 v135, v[107:108] offset:360
	ds_write_b64 v135, v[63:64] offset:720
	ds_write2_b64 v135, v[61:62], v[65:66] offset1:9
	ds_write_b64 v135, v[117:118] offset:792
	ds_write2_b64 v135, v[109:110], v[113:114] offset0:54 offset1:63
	ds_write2_b64 v135, v[67:68], v[69:70] offset0:18 offset1:27
	;; [unrolled: 1-line block ×3, first 2 shown]
	ds_write_b64 v135, v[103:104] offset:288
	ds_write2_b64 v135, v[115:116], v[119:120] offset0:72 offset1:81
	ds_write_b64 v135, v[111:112] offset:1008
	s_waitcnt lgkmcnt(0)
	s_barrier
	buffer_gl0_inv
	s_clause 0xe
	global_load_dwordx2 v[103:104], v60, s[8:9] offset:1080
	global_load_dwordx2 v[105:106], v60, s[6:7] offset:72
	global_load_dwordx2 v[113:114], v60, s[6:7] offset:432
	global_load_dwordx2 v[115:116], v60, s[6:7] offset:504
	global_load_dwordx2 v[117:118], v60, s[6:7] offset:864
	global_load_dwordx2 v[123:124], v60, s[6:7] offset:936
	global_load_dwordx2 v[109:110], v60, s[6:7] offset:216
	global_load_dwordx2 v[107:108], v60, s[6:7] offset:288
	global_load_dwordx2 v[111:112], v60, s[6:7] offset:144
	global_load_dwordx2 v[119:120], v60, s[6:7] offset:576
	global_load_dwordx2 v[131:132], v60, s[6:7] offset:360
	global_load_dwordx2 v[125:126], v60, s[6:7] offset:648
	global_load_dwordx2 v[121:122], v60, s[6:7] offset:720
	global_load_dwordx2 v[127:128], v60, s[6:7] offset:792
	global_load_dwordx2 v[129:130], v60, s[6:7] offset:1008
	ds_read2_b64 v[60:63], v135 offset1:9
	ds_read2_b64 v[68:71], v135 offset0:54 offset1:63
	ds_read2_b64 v[64:67], v135 offset0:108 offset1:117
	v_mad_u64_u32 v[133:134], null, s2, v102, 0
	v_mad_u64_u32 v[154:155], null, s3, v102, v[134:135]
	;; [unrolled: 1-line block ×3, first 2 shown]
	s_load_dwordx2 s[2:3], s[4:5], 0x38
	s_mul_hi_u32 s4, s0, 0xd8
	s_waitcnt vmcnt(14) lgkmcnt(0)
	v_mul_f32_e32 v148, v61, v104
	v_mul_f32_e32 v153, v60, v104
	s_waitcnt vmcnt(13)
	v_mul_f32_e32 v102, v63, v106
	v_mul_f32_e32 v104, v62, v106
	s_waitcnt vmcnt(12)
	v_mul_f32_e32 v106, v68, v114
	v_fma_f32 v152, v60, v103, -v148
	ds_read2_b64 v[148:151], v135 offset0:18 offset1:27
	v_fmac_f32_e32 v153, v61, v103
	v_mul_f32_e32 v60, v69, v114
	s_waitcnt vmcnt(11)
	v_mul_f32_e32 v61, v71, v116
	v_fma_f32 v103, v62, v105, -v102
	v_fmac_f32_e32 v104, v63, v105
	v_fmac_f32_e32 v106, v69, v113
	v_fma_f32 v105, v68, v113, -v60
	v_fma_f32 v113, v70, v115, -v61
	ds_read2_b64 v[60:63], v135 offset0:36 offset1:45
	v_mul_f32_e32 v114, v70, v116
	s_waitcnt vmcnt(10)
	v_mul_f32_e32 v102, v65, v118
	v_mul_f32_e32 v116, v64, v118
	s_waitcnt vmcnt(9)
	v_mul_f32_e32 v134, v67, v124
	v_mul_f32_e32 v118, v66, v124
	v_fmac_f32_e32 v114, v71, v115
	v_fma_f32 v115, v64, v117, -v102
	v_fmac_f32_e32 v116, v65, v117
	ds_read2_b64 v[68:71], v135 offset0:72 offset1:81
	v_fma_f32 v117, v66, v123, -v134
	s_waitcnt vmcnt(8) lgkmcnt(2)
	v_mul_f32_e32 v64, v151, v110
	v_mul_f32_e32 v124, v150, v110
	s_waitcnt vmcnt(6)
	v_mul_f32_e32 v65, v149, v112
	v_mul_f32_e32 v110, v148, v112
	v_fmac_f32_e32 v118, v67, v123
	v_fma_f32 v123, v150, v109, -v64
	v_fmac_f32_e32 v124, v151, v109
	v_fma_f32 v109, v148, v111, -v65
	v_fmac_f32_e32 v110, v149, v111
	ds_read2_b64 v[64:67], v135 offset0:90 offset1:99
	ds_read_b64 v[148:149], v135 offset:1008
	s_waitcnt lgkmcnt(3)
	v_mul_f32_e32 v112, v60, v108
	v_mul_f32_e32 v111, v61, v108
	v_mov_b32_e32 v102, v156
	v_mov_b32_e32 v134, v154
	v_fmac_f32_e32 v112, v61, v107
	s_waitcnt vmcnt(4)
	v_mul_f32_e32 v61, v62, v132
	v_fma_f32 v111, v60, v107, -v111
	v_mul_f32_e32 v60, v63, v132
	v_mad_u64_u32 v[150:151], null, s1, v136, v[102:103]
	s_waitcnt vmcnt(3) lgkmcnt(2)
	v_mul_f32_e32 v102, v71, v126
	v_mul_f32_e32 v107, v69, v120
	v_fmac_f32_e32 v61, v63, v131
	v_mul_f32_e32 v63, v70, v126
	v_fma_f32 v60, v62, v131, -v60
	v_mul_f32_e32 v108, v68, v120
	v_fma_f32 v62, v70, v125, -v102
	v_fma_f32 v107, v68, v119, -v107
	s_waitcnt vmcnt(1) lgkmcnt(1)
	v_mul_f32_e32 v120, v66, v128
	s_waitcnt vmcnt(0) lgkmcnt(0)
	v_mul_f32_e32 v102, v149, v130
	v_mul_f32_e32 v68, v148, v130
	;; [unrolled: 1-line block ×4, first 2 shown]
	v_fmac_f32_e32 v63, v71, v125
	v_mul_f32_e32 v71, v67, v128
	v_fmac_f32_e32 v108, v69, v119
	v_fmac_f32_e32 v120, v67, v127
	v_fma_f32 v67, v148, v129, -v102
	v_fmac_f32_e32 v68, v149, v129
	v_fma_f32 v69, v64, v121, -v126
	;; [unrolled: 2-line block ×3, first 2 shown]
	ds_write2_b64 v135, v[152:153], v[103:104] offset1:9
	ds_write2_b64 v135, v[105:106], v[113:114] offset0:54 offset1:63
	ds_write2_b64 v135, v[115:116], v[117:118] offset0:108 offset1:117
	;; [unrolled: 1-line block ×6, first 2 shown]
	ds_write_b64 v135, v[67:68] offset:1008
	s_waitcnt lgkmcnt(0)
	s_barrier
	buffer_gl0_inv
	ds_read2_b64 v[65:68], v135 offset0:18 offset1:27
	ds_read2_b64 v[102:105], v135 offset0:54 offset1:63
	;; [unrolled: 1-line block ×4, first 2 shown]
	ds_read2_b64 v[114:117], v135 offset1:9
	v_mov_b32_e32 v156, v150
	v_lshlrev_b64 v[60:61], 3, v[133:134]
	ds_read2_b64 v[118:121], v135 offset0:36 offset1:45
	ds_read2_b64 v[122:125], v135 offset0:90 offset1:99
	v_lshlrev_b64 v[62:63], 3, v[155:156]
	v_add_co_u32 v60, vcc_lo, s2, v60
	v_add_co_ci_u32_e32 v61, vcc_lo, s3, v61, vcc_lo
	s_mul_i32 s3, s1, 0xd8
	v_add_co_u32 v60, vcc_lo, v60, v62
	v_add_co_ci_u32_e32 v61, vcc_lo, v61, v63, vcc_lo
	s_waitcnt lgkmcnt(5)
	v_sub_f32_e32 v64, v67, v102
	v_sub_f32_e32 v128, v68, v103
	s_waitcnt lgkmcnt(3)
	v_sub_f32_e32 v130, v68, v111
	s_waitcnt lgkmcnt(2)
	v_add_f32_e32 v62, v114, v67
	v_add_f32_e32 v63, v115, v68
	s_waitcnt lgkmcnt(1)
	v_add_f32_e32 v69, v116, v118
	v_add_f32_e32 v70, v117, v119
	v_sub_f32_e32 v131, v67, v110
	v_add_f32_e32 v62, v62, v102
	v_add_f32_e32 v63, v63, v103
	v_sub_f32_e32 v134, v102, v67
	v_sub_f32_e32 v148, v103, v68
	s_waitcnt lgkmcnt(0)
	v_add_f32_e32 v149, v104, v122
	v_add_f32_e32 v62, v62, v108
	;; [unrolled: 1-line block ×3, first 2 shown]
	v_sub_f32_e32 v150, v104, v118
	v_add_f32_e32 v151, v105, v123
	v_sub_f32_e32 v152, v105, v119
	v_sub_f32_e32 v153, v105, v123
	v_sub_f32_e32 v154, v104, v122
	v_sub_f32_e32 v155, v118, v104
	v_add_f32_e32 v69, v69, v104
	v_add_f32_e32 v70, v70, v105
	v_sub_f32_e32 v156, v119, v105
	v_add_f32_e32 v104, v67, v110
	v_add_f32_e32 v105, v68, v111
	;; [unrolled: 1-line block ×4, first 2 shown]
	ds_read_b64 v[62:63], v135 offset:1008
	v_add_f32_e32 v126, v102, v108
	v_add_f32_e32 v127, v103, v109
	v_sub_f32_e32 v132, v103, v109
	v_sub_f32_e32 v133, v102, v108
	v_add_f32_e32 v102, v66, v121
	v_add_f32_e32 v103, v65, v120
	v_sub_f32_e32 v71, v110, v108
	v_sub_f32_e32 v129, v111, v109
	;; [unrolled: 1-line block ×3, first 2 shown]
	v_add_f32_e32 v69, v69, v122
	v_add_f32_e32 v70, v70, v123
	v_sub_f32_e32 v108, v109, v111
	v_add_f32_e32 v109, v118, v112
	v_sub_f32_e32 v159, v118, v112
	v_add_f32_e32 v163, v107, v125
	v_add_f32_e32 v103, v103, v106
	;; [unrolled: 1-line block ×5, first 2 shown]
	s_waitcnt lgkmcnt(0)
	v_add_f32_e32 v118, v121, v63
	v_add_f32_e32 v69, v69, v112
	;; [unrolled: 1-line block ×3, first 2 shown]
	v_sub_f32_e32 v110, v122, v112
	v_sub_f32_e32 v157, v123, v113
	;; [unrolled: 1-line block ×6, first 2 shown]
	v_add_f32_e32 v122, v120, v62
	v_sub_f32_e32 v123, v120, v106
	v_sub_f32_e32 v120, v106, v120
	;; [unrolled: 1-line block ×3, first 2 shown]
	v_fma_f32 v106, -0.5, v149, v116
	v_fma_f32 v116, -0.5, v109, v116
	;; [unrolled: 1-line block ×3, first 2 shown]
	v_fmac_f32_e32 v66, -0.5, v118
	v_sub_f32_e32 v119, v107, v121
	v_sub_f32_e32 v161, v121, v63
	;; [unrolled: 1-line block ×4, first 2 shown]
	v_add_f32_e32 v166, v103, v124
	v_add_f32_e32 v167, v102, v125
	v_sub_f32_e32 v169, v62, v124
	v_fma_f32 v102, -0.5, v126, v114
	v_fma_f32 v103, -0.5, v127, v115
	;; [unrolled: 1-line block ×3, first 2 shown]
	v_sub_f32_e32 v168, v125, v63
	v_fma_f32 v104, -0.5, v104, v114
	v_fma_f32 v105, -0.5, v105, v115
	v_sub_f32_e32 v124, v124, v62
	v_sub_f32_e32 v125, v63, v125
	v_add_f32_e32 v128, v128, v129
	v_add_f32_e32 v129, v134, v136
	;; [unrolled: 1-line block ×3, first 2 shown]
	v_fma_f32 v108, -0.5, v162, v65
	v_fmac_f32_e32 v117, -0.5, v111
	v_add_f32_e32 v136, v150, v110
	v_fma_f32 v110, -0.5, v122, v65
	v_fmamk_f32 v127, v164, 0xbf737871, v66
	v_fmac_f32_e32 v66, 0x3f737871, v164
	v_add_f32_e32 v151, v123, v169
	v_fmamk_f32 v114, v130, 0xbf737871, v102
	v_fmamk_f32 v115, v131, 0x3f737871, v103
	;; [unrolled: 1-line block ×4, first 2 shown]
	v_add_f32_e32 v150, v119, v168
	v_fmamk_f32 v118, v132, 0x3f737871, v104
	v_fmac_f32_e32 v104, 0xbf737871, v132
	v_fmamk_f32 v119, v133, 0xbf737871, v105
	v_fmac_f32_e32 v105, 0x3f737871, v133
	v_fmac_f32_e32 v106, 0x3f737871, v158
	;; [unrolled: 1-line block ×3, first 2 shown]
	v_add_f32_e32 v111, v152, v157
	v_add_f32_e32 v148, v155, v112
	;; [unrolled: 1-line block ×4, first 2 shown]
	v_fmac_f32_e32 v102, 0x3f737871, v130
	v_fmac_f32_e32 v103, 0xbf737871, v131
	v_fmamk_f32 v124, v161, 0xbf737871, v108
	v_fmamk_f32 v125, v160, 0x3f737871, v109
	;; [unrolled: 1-line block ×3, first 2 shown]
	v_fmac_f32_e32 v116, 0xbf737871, v153
	v_fmamk_f32 v121, v154, 0xbf737871, v117
	v_fmac_f32_e32 v117, 0x3f737871, v154
	v_fmac_f32_e32 v108, 0x3f737871, v161
	;; [unrolled: 1-line block ×3, first 2 shown]
	v_fmamk_f32 v126, v165, 0x3f737871, v110
	v_fmac_f32_e32 v110, 0xbf737871, v165
	v_fmac_f32_e32 v66, 0xbf167918, v160
	v_add_f32_e32 v71, v64, v71
	v_add_f32_e32 v149, v156, v113
	v_fmac_f32_e32 v114, 0xbf167918, v132
	v_fmac_f32_e32 v115, 0x3f167918, v133
	;; [unrolled: 1-line block ×34, first 2 shown]
	v_add_f32_e32 v112, v166, v62
	v_add_f32_e32 v113, v167, v63
	v_fmac_f32_e32 v102, 0x3e9e377a, v71
	v_fmac_f32_e32 v103, 0x3e9e377a, v128
	v_fmac_f32_e32 v124, 0x3e9e377a, v151
	v_fmac_f32_e32 v125, 0x3e9e377a, v155
	v_fmac_f32_e32 v120, 0x3e9e377a, v136
	v_fmac_f32_e32 v116, 0x3e9e377a, v136
	v_fmac_f32_e32 v121, 0x3e9e377a, v111
	v_fmac_f32_e32 v117, 0x3e9e377a, v111
	v_fmac_f32_e32 v108, 0x3e9e377a, v151
	v_fmac_f32_e32 v109, 0x3e9e377a, v155
	v_fmac_f32_e32 v126, 0x3e9e377a, v152
	v_fmac_f32_e32 v110, 0x3e9e377a, v152
	v_fmac_f32_e32 v127, 0x3e9e377a, v150
	v_mov_b32_e32 v111, v66
	s_barrier
	buffer_gl0_inv
	ds_write2_b64 v139, v[67:68], v[114:115] offset1:1
	ds_write2_b64 v139, v[118:119], v[104:105] offset0:2 offset1:3
	ds_write_b64 v139, v[102:103] offset:32
	ds_write2_b64 v138, v[120:121], v[116:117] offset0:2 offset1:3
	ds_write2_b64 v138, v[69:70], v[122:123] offset1:1
	ds_write_b64 v138, v[106:107] offset:32
	ds_write2_b64 v137, v[112:113], v[124:125] offset1:1
	ds_write_b64 v137, v[108:109] offset:32
	ds_write2_b64 v137, v[126:127], v[110:111] offset0:2 offset1:3
	s_waitcnt lgkmcnt(0)
	s_barrier
	buffer_gl0_inv
	ds_read2_b64 v[102:105], v135 offset0:36 offset1:45
	ds_read2_b64 v[106:109], v135 offset0:90 offset1:99
	;; [unrolled: 1-line block ×5, first 2 shown]
	ds_read_b64 v[130:131], v135 offset:1008
	ds_read2_b64 v[122:125], v135 offset1:9
	ds_read2_b64 v[126:129], v135 offset0:18 offset1:27
	s_waitcnt lgkmcnt(0)
	s_barrier
	buffer_gl0_inv
	s_mul_i32 s2, s0, 0xd8
	s_add_i32 s3, s4, s3
	v_add_co_u32 v62, vcc_lo, v60, s2
	v_add_co_ci_u32_e32 v63, vcc_lo, s3, v61, vcc_lo
	s_mulk_i32 s1, 0xfce8
	v_add_co_u32 v64, vcc_lo, v62, s2
	v_add_co_ci_u32_e32 v65, vcc_lo, s3, v63, vcc_lo
	s_sub_i32 s4, s1, s0
	v_add_co_u32 v66, vcc_lo, v64, s2
	v_mul_f32_e32 v132, v17, v105
	v_mul_f32_e32 v17, v17, v104
	;; [unrolled: 1-line block ×15, first 2 shown]
	v_fmac_f32_e32 v132, v16, v104
	v_fma_f32 v16, v16, v105, -v17
	v_fmac_f32_e32 v133, v18, v106
	v_fma_f32 v17, v18, v107, -v19
	v_mul_f32_e32 v5, v5, v118
	v_mul_f32_e32 v18, v1, v121
	;; [unrolled: 1-line block ×5, first 2 shown]
	v_fmac_f32_e32 v136, v12, v110
	v_fma_f32 v12, v12, v111, -v13
	v_fmac_f32_e32 v137, v8, v112
	v_fma_f32 v8, v8, v113, -v9
	v_fma_f32 v9, v10, v115, -v11
	v_fmac_f32_e32 v148, v4, v118
	v_fmac_f32_e32 v134, v14, v108
	v_fma_f32 v14, v14, v109, -v15
	v_fmac_f32_e32 v138, v10, v114
	v_fmac_f32_e32 v139, v6, v116
	v_fma_f32 v7, v6, v117, -v7
	v_fma_f32 v4, v4, v119, -v5
	v_fmac_f32_e32 v18, v0, v120
	v_fma_f32 v0, v0, v121, -v1
	v_fmac_f32_e32 v19, v2, v130
	v_fma_f32 v13, v2, v131, -v3
	v_add_f32_e32 v1, v122, v132
	v_add_f32_e32 v10, v132, v133
	;; [unrolled: 1-line block ×7, first 2 shown]
	v_sub_f32_e32 v108, v8, v9
	v_add_f32_e32 v109, v127, v8
	v_add_f32_e32 v110, v8, v9
	;; [unrolled: 1-line block ×4, first 2 shown]
	v_sub_f32_e32 v105, v12, v14
	v_add_f32_e32 v12, v12, v14
	v_add_f32_e32 v107, v137, v138
	v_sub_f32_e32 v104, v16, v17
	v_sub_f32_e32 v16, v132, v133
	v_add_f32_e32 v112, v148, v139
	v_add_f32_e32 v113, v129, v4
	v_sub_f32_e32 v114, v4, v7
	v_add_f32_e32 v115, v4, v7
	v_add_f32_e32 v117, v18, v19
	;; [unrolled: 1-line block ×3, first 2 shown]
	v_sub_f32_e32 v120, v0, v13
	v_add_f32_e32 v121, v0, v13
	v_add_f32_e32 v0, v1, v133
	;; [unrolled: 1-line block ×8, first 2 shown]
	v_fma_f32 v8, -0.5, v10, v122
	v_fma_f32 v9, -0.5, v11, v123
	v_sub_f32_e32 v106, v136, v134
	v_fma_f32 v124, -0.5, v15, v124
	v_fmac_f32_e32 v125, -0.5, v12
	v_sub_f32_e32 v111, v137, v138
	v_add_f32_e32 v118, v102, v18
	v_fma_f32 v10, -0.5, v107, v126
	v_fma_f32 v11, -0.5, v110, v127
	v_sub_f32_e32 v116, v148, v139
	v_sub_f32_e32 v130, v18, v19
	v_fma_f32 v128, -0.5, v112, v128
	v_fmac_f32_e32 v129, -0.5, v115
	v_fma_f32 v102, -0.5, v117, v102
	v_fmac_f32_e32 v103, -0.5, v121
	v_fmamk_f32 v14, v104, 0xbf5db3d7, v8
	v_fmamk_f32 v15, v16, 0x3f5db3d7, v9
	v_fmac_f32_e32 v8, 0x3f5db3d7, v104
	v_fmac_f32_e32 v9, 0xbf5db3d7, v16
	v_fmamk_f32 v16, v105, 0xbf5db3d7, v124
	v_fmamk_f32 v17, v106, 0x3f5db3d7, v125
	v_fmac_f32_e32 v124, 0x3f5db3d7, v105
	v_fmac_f32_e32 v125, 0xbf5db3d7, v106
	v_add_f32_e32 v7, v113, v7
	v_add_f32_e32 v12, v118, v19
	v_fmamk_f32 v18, v108, 0xbf5db3d7, v10
	v_fmamk_f32 v19, v111, 0x3f5db3d7, v11
	v_add_f32_e32 v13, v119, v13
	v_fmac_f32_e32 v10, 0x3f5db3d7, v108
	v_fmac_f32_e32 v11, 0xbf5db3d7, v111
	v_fmamk_f32 v104, v114, 0xbf5db3d7, v128
	v_fmac_f32_e32 v128, 0x3f5db3d7, v114
	v_fmamk_f32 v105, v116, 0x3f5db3d7, v129
	;; [unrolled: 2-line block ×4, first 2 shown]
	v_fmac_f32_e32 v103, 0xbf5db3d7, v130
	ds_write2_b64 v140, v[0:1], v[14:15] offset1:5
	ds_write_b64 v140, v[8:9] offset:80
	ds_write2_b64 v144, v[2:3], v[16:17] offset1:5
	ds_write_b64 v144, v[124:125] offset:80
	;; [unrolled: 2-line block ×5, first 2 shown]
	s_waitcnt lgkmcnt(0)
	s_barrier
	buffer_gl0_inv
	ds_read2_b64 v[4:7], v135 offset0:36 offset1:45
	ds_read2_b64 v[8:11], v135 offset0:90 offset1:99
	;; [unrolled: 1-line block ×5, first 2 shown]
	ds_read2_b64 v[106:109], v135 offset1:9
	ds_read2_b64 v[110:113], v135 offset0:18 offset1:27
	ds_read_b64 v[114:115], v135 offset:1008
	s_waitcnt lgkmcnt(0)
	s_barrier
	buffer_gl0_inv
	v_add_co_ci_u32_e32 v67, vcc_lo, s3, v65, vcc_lo
	v_add_co_u32 v68, vcc_lo, v66, s2
	v_add_co_ci_u32_e32 v69, vcc_lo, s3, v67, vcc_lo
	v_mad_u64_u32 v[70:71], null, 0xfffffce8, s0, v[68:69]
	v_mul_f32_e32 v116, v33, v7
	v_mul_f32_e32 v33, v33, v6
	v_mul_f32_e32 v117, v35, v9
	v_mul_f32_e32 v35, v35, v8
	v_mul_f32_e32 v118, v39, v11
	v_mul_f32_e32 v39, v39, v10
	v_mul_f32_e32 v119, v37, v13
	v_mul_f32_e32 v37, v37, v12
	v_mul_f32_e32 v120, v25, v15
	v_mul_f32_e32 v25, v25, v14
	v_mul_f32_e32 v121, v27, v17
	v_mul_f32_e32 v27, v27, v16
	v_mul_f32_e32 v122, v29, v103
	v_mul_f32_e32 v29, v29, v102
	v_mul_f32_e32 v123, v31, v19
	v_mul_f32_e32 v31, v31, v18
	v_mul_f32_e32 v124, v21, v105
	v_mul_f32_e32 v21, v21, v104
	v_mul_f32_e32 v125, v23, v115
	v_mul_f32_e32 v23, v23, v114
	v_fmac_f32_e32 v116, v32, v6
	v_fma_f32 v6, v32, v7, -v33
	v_fmac_f32_e32 v117, v34, v8
	v_fma_f32 v7, v34, v9, -v35
	v_fmac_f32_e32 v118, v38, v10
	v_fma_f32 v11, v38, v11, -v39
	v_fmac_f32_e32 v119, v36, v12
	v_fma_f32 v8, v36, v13, -v37
	v_fmac_f32_e32 v120, v24, v14
	v_fma_f32 v9, v24, v15, -v25
	v_fmac_f32_e32 v121, v26, v16
	v_fma_f32 v13, v26, v17, -v27
	v_fmac_f32_e32 v122, v28, v102
	v_fma_f32 v10, v28, v103, -v29
	v_fmac_f32_e32 v123, v30, v18
	v_fma_f32 v17, v30, v19, -v31
	v_fmac_f32_e32 v124, v20, v104
	v_fma_f32 v12, v20, v105, -v21
	v_fmac_f32_e32 v125, v22, v114
	v_fma_f32 v19, v22, v115, -v23
	v_add_f32_e32 v15, v116, v117
	v_add_f32_e32 v18, v6, v7
	;; [unrolled: 1-line block ×7, first 2 shown]
	v_sub_f32_e32 v21, v6, v7
	v_add_f32_e32 v16, v107, v6
	v_sub_f32_e32 v22, v116, v117
	v_add_f32_e32 v20, v108, v119
	;; [unrolled: 2-line block ×4, first 2 shown]
	v_add_f32_e32 v35, v122, v123
	v_add_f32_e32 v38, v10, v17
	v_add_f32_e32 v103, v124, v125
	v_add_f32_e32 v114, v12, v19
	v_fma_f32 v8, -0.5, v15, v106
	v_fma_f32 v9, -0.5, v18, v107
	v_sub_f32_e32 v27, v119, v118
	v_fma_f32 v108, -0.5, v23, v108
	v_fmac_f32_e32 v109, -0.5, v26
	v_add_f32_e32 v28, v110, v120
	v_sub_f32_e32 v33, v120, v121
	v_add_f32_e32 v34, v112, v122
	v_add_f32_e32 v37, v113, v10
	;; [unrolled: 1-line block ×5, first 2 shown]
	v_fma_f32 v14, -0.5, v29, v110
	v_fma_f32 v15, -0.5, v32, v111
	v_sub_f32_e32 v36, v10, v17
	v_sub_f32_e32 v39, v122, v123
	;; [unrolled: 1-line block ×4, first 2 shown]
	v_add_f32_e32 v7, v16, v7
	v_add_f32_e32 v10, v20, v118
	v_fma_f32 v112, -0.5, v35, v112
	v_fmac_f32_e32 v113, -0.5, v38
	v_fma_f32 v4, -0.5, v103, v4
	v_fmac_f32_e32 v5, -0.5, v114
	v_fmamk_f32 v20, v21, 0xbf5db3d7, v8
	v_fmac_f32_e32 v8, 0x3f5db3d7, v21
	v_fmamk_f32 v21, v22, 0x3f5db3d7, v9
	v_fmac_f32_e32 v9, 0xbf5db3d7, v22
	v_add_f32_e32 v11, v25, v11
	v_fmamk_f32 v22, v24, 0xbf5db3d7, v108
	v_fmamk_f32 v23, v27, 0x3f5db3d7, v109
	v_fmac_f32_e32 v108, 0x3f5db3d7, v24
	v_fmac_f32_e32 v109, 0xbf5db3d7, v27
	v_add_f32_e32 v12, v28, v121
	v_add_f32_e32 v13, v31, v13
	;; [unrolled: 1-line block ×6, first 2 shown]
	v_fmamk_f32 v24, v30, 0xbf5db3d7, v14
	v_fmac_f32_e32 v14, 0x3f5db3d7, v30
	v_fmamk_f32 v25, v33, 0x3f5db3d7, v15
	v_fmac_f32_e32 v15, 0xbf5db3d7, v33
	;; [unrolled: 2-line block ×6, first 2 shown]
	ds_write2_b64 v135, v[6:7], v[20:21] offset1:15
	ds_write_b64 v135, v[8:9] offset:240
	ds_write2_b64 v147, v[10:11], v[22:23] offset1:15
	ds_write_b64 v147, v[108:109] offset:240
	ds_write2_b64 v135, v[12:13], v[24:25] offset0:48 offset1:63
	ds_write_b64 v135, v[14:15] offset:624
	ds_write2_b64 v146, v[16:17], v[26:27] offset1:15
	ds_write_b64 v146, v[112:113] offset:240
	ds_write2_b64 v145, v[18:19], v[28:29] offset0:90 offset1:105
	ds_write_b64 v145, v[4:5] offset:960
	s_waitcnt lgkmcnt(0)
	s_barrier
	buffer_gl0_inv
	ds_read2_b64 v[10:13], v135 offset0:36 offset1:45
	ds_read2_b64 v[14:17], v135 offset0:90 offset1:99
	;; [unrolled: 1-line block ×5, first 2 shown]
	ds_read2_b64 v[30:33], v135 offset1:9
	ds_read_b64 v[38:39], v135 offset:1008
	ds_read2_b64 v[34:37], v135 offset0:18 offset1:27
	v_add_nc_u32_e32 v71, s4, v71
	v_add_co_u32 v0, vcc_lo, v70, s2
	v_add_co_ci_u32_e32 v1, vcc_lo, s3, v71, vcc_lo
	v_add_co_u32 v2, vcc_lo, v0, s2
	v_add_co_ci_u32_e32 v3, vcc_lo, s3, v1, vcc_lo
	v_add_co_u32 v4, vcc_lo, v2, s2
	s_waitcnt lgkmcnt(7)
	v_mul_f32_e32 v102, v41, v13
	v_mul_f32_e32 v41, v41, v12
	s_waitcnt lgkmcnt(6)
	v_mul_f32_e32 v103, v43, v15
	v_mul_f32_e32 v43, v43, v14
	;; [unrolled: 3-line block ×3, first 2 shown]
	v_mul_f32_e32 v105, v47, v17
	v_mul_f32_e32 v47, v47, v16
	;; [unrolled: 1-line block ×4, first 2 shown]
	s_waitcnt lgkmcnt(4)
	v_mul_f32_e32 v107, v51, v23
	v_mul_f32_e32 v51, v51, v22
	;; [unrolled: 1-line block ×4, first 2 shown]
	s_waitcnt lgkmcnt(3)
	v_mul_f32_e32 v110, v53, v29
	v_mul_f32_e32 v53, v53, v28
	s_waitcnt lgkmcnt(1)
	v_mul_f32_e32 v111, v55, v39
	v_mul_f32_e32 v55, v55, v38
	;; [unrolled: 1-line block ×4, first 2 shown]
	v_fmac_f32_e32 v102, v40, v12
	v_fma_f32 v12, v40, v13, -v41
	v_fmac_f32_e32 v103, v42, v14
	v_fma_f32 v13, v42, v15, -v43
	;; [unrolled: 2-line block ×6, first 2 shown]
	v_fma_f32 v23, v58, v25, -v59
	v_fmac_f32_e32 v110, v52, v28
	v_fma_f32 v18, v52, v29, -v53
	v_fmac_f32_e32 v111, v54, v38
	;; [unrolled: 2-line block ×4, first 2 shown]
	v_add_f32_e32 v21, v102, v103
	v_add_f32_e32 v24, v12, v13
	;; [unrolled: 1-line block ×9, first 2 shown]
	v_sub_f32_e32 v27, v12, v13
	v_sub_f32_e32 v28, v102, v103
	v_add_f32_e32 v26, v32, v104
	v_sub_f32_e32 v38, v14, v17
	v_add_f32_e32 v39, v33, v14
	v_sub_f32_e32 v44, v15, v19
	s_waitcnt lgkmcnt(0)
	v_add_f32_e32 v45, v35, v15
	v_add_f32_e32 v49, v108, v109
	;; [unrolled: 1-line block ×3, first 2 shown]
	v_fma_f32 v14, -0.5, v21, v30
	v_fma_f32 v15, -0.5, v24, v31
	v_add_f32_e32 v22, v31, v12
	v_sub_f32_e32 v41, v104, v105
	v_fma_f32 v32, -0.5, v29, v32
	v_fmac_f32_e32 v33, -0.5, v40
	v_add_f32_e32 v42, v34, v106
	v_sub_f32_e32 v47, v106, v107
	v_add_f32_e32 v54, v10, v110
	v_sub_f32_e32 v56, v18, v25
	;; [unrolled: 2-line block ×3, first 2 shown]
	v_add_f32_e32 v12, v20, v103
	v_fma_f32 v20, -0.5, v43, v34
	v_fma_f32 v21, -0.5, v46, v35
	v_fma_f32 v10, -0.5, v55, v10
	v_fmac_f32_e32 v11, -0.5, v58
	v_add_f32_e32 v48, v36, v108
	v_sub_f32_e32 v50, v16, v23
	v_add_f32_e32 v51, v37, v16
	v_sub_f32_e32 v53, v108, v109
	v_add_f32_e32 v16, v26, v105
	v_fma_f32 v36, -0.5, v49, v36
	v_fmac_f32_e32 v37, -0.5, v52
	v_fmamk_f32 v26, v27, 0xbf5db3d7, v14
	v_fmac_f32_e32 v14, 0x3f5db3d7, v27
	v_fmamk_f32 v27, v28, 0x3f5db3d7, v15
	v_fmac_f32_e32 v15, 0xbf5db3d7, v28
	v_add_f32_e32 v13, v22, v13
	v_add_f32_e32 v17, v39, v17
	v_fmamk_f32 v28, v38, 0xbf5db3d7, v32
	v_fmac_f32_e32 v32, 0x3f5db3d7, v38
	v_fmamk_f32 v29, v41, 0x3f5db3d7, v33
	v_fmac_f32_e32 v33, 0xbf5db3d7, v41
	v_add_f32_e32 v18, v42, v107
	v_add_f32_e32 v19, v45, v19
	v_fmamk_f32 v30, v44, 0xbf5db3d7, v20
	v_fmac_f32_e32 v20, 0x3f5db3d7, v44
	v_fmamk_f32 v31, v47, 0x3f5db3d7, v21
	v_fmac_f32_e32 v21, 0xbf5db3d7, v47
	;; [unrolled: 2-line block ×4, first 2 shown]
	v_add_f32_e32 v22, v48, v109
	v_add_f32_e32 v23, v51, v23
	;; [unrolled: 1-line block ×4, first 2 shown]
	v_fmamk_f32 v34, v50, 0xbf5db3d7, v36
	v_fmac_f32_e32 v36, 0x3f5db3d7, v50
	v_fmamk_f32 v35, v53, 0x3f5db3d7, v37
	v_fmac_f32_e32 v37, 0xbf5db3d7, v53
	ds_write_b64 v135, v[26:27] offset:360
	ds_write_b64 v135, v[14:15] offset:720
	ds_write2_b64 v135, v[12:13], v[16:17] offset1:9
	ds_write_b64 v135, v[32:33] offset:792
	ds_write2_b64 v135, v[28:29], v[30:31] offset0:54 offset1:63
	ds_write2_b64 v135, v[18:19], v[22:23] offset0:18 offset1:27
	;; [unrolled: 1-line block ×3, first 2 shown]
	ds_write_b64 v135, v[24:25] offset:288
	ds_write2_b64 v135, v[34:35], v[38:39] offset0:72 offset1:81
	ds_write_b64 v135, v[10:11] offset:1008
	s_waitcnt lgkmcnt(0)
	s_barrier
	buffer_gl0_inv
	ds_read2_b64 v[10:13], v135 offset1:9
	ds_read2_b64 v[14:17], v135 offset0:18 offset1:27
	ds_read2_b64 v[18:21], v135 offset0:54 offset1:63
	;; [unrolled: 1-line block ×6, first 2 shown]
	ds_read_b64 v[42:43], v135 offset:1008
	v_add_co_ci_u32_e32 v5, vcc_lo, s3, v3, vcc_lo
	v_add_co_u32 v6, vcc_lo, v4, s2
	v_add_co_ci_u32_e32 v7, vcc_lo, s3, v5, vcc_lo
	v_mad_u64_u32 v[8:9], null, 0xfffffce8, s0, v[6:7]
	s_mov_b32 s0, 0xc901e574
	s_waitcnt lgkmcnt(7)
	v_mul_f32_e32 v44, v83, v11
	v_mul_f32_e32 v45, v83, v10
	s_waitcnt lgkmcnt(6)
	v_mul_f32_e32 v46, v75, v17
	v_mul_f32_e32 v47, v75, v16
	;; [unrolled: 3-line block ×5, first 2 shown]
	v_mul_f32_e32 v54, v81, v13
	v_mul_f32_e32 v55, v81, v12
	v_fmac_f32_e32 v44, v82, v10
	v_fma_f32 v45, v82, v11, -v45
	s_waitcnt lgkmcnt(2)
	v_mul_f32_e32 v56, v85, v31
	v_mul_f32_e32 v57, v85, v30
	;; [unrolled: 1-line block ×4, first 2 shown]
	v_fmac_f32_e32 v46, v74, v16
	v_fma_f32 v16, v74, v17, -v47
	v_mul_f32_e32 v58, v87, v21
	v_mul_f32_e32 v59, v87, v20
	v_fmac_f32_e32 v48, v72, v18
	v_fma_f32 v47, v72, v19, -v49
	s_waitcnt lgkmcnt(1)
	v_mul_f32_e32 v73, v95, v35
	v_mul_f32_e32 v75, v95, v34
	;; [unrolled: 1-line block ×6, first 2 shown]
	v_fmac_f32_e32 v50, v78, v24
	v_fma_f32 v24, v78, v25, -v51
	v_fmac_f32_e32 v52, v76, v26
	v_fma_f32 v49, v76, v27, -v53
	v_mul_f32_e32 v85, v93, v33
	v_mul_f32_e32 v87, v93, v32
	v_fmac_f32_e32 v54, v80, v12
	v_fma_f32 v51, v80, v13, -v55
	v_cvt_f64_f32_e32 v[10:11], v44
	v_cvt_f64_f32_e32 v[12:13], v45
	v_mul_f32_e32 v93, v97, v37
	v_mul_f32_e32 v95, v97, v36
	v_fmac_f32_e32 v56, v84, v30
	v_fma_f32 v53, v84, v31, -v57
	v_fmac_f32_e32 v81, v90, v14
	v_fma_f32 v72, v90, v15, -v83
	v_cvt_f64_f32_e32 v[14:15], v46
	v_cvt_f64_f32_e32 v[16:17], v16
	s_waitcnt lgkmcnt(0)
	v_mul_f32_e32 v97, v101, v43
	v_mul_f32_e32 v99, v101, v42
	v_fmac_f32_e32 v58, v86, v20
	v_fma_f32 v55, v86, v21, -v59
	v_cvt_f64_f32_e32 v[18:19], v48
	v_cvt_f64_f32_e32 v[20:21], v47
	v_fmac_f32_e32 v73, v94, v34
	v_fma_f32 v57, v94, v35, -v75
	v_fmac_f32_e32 v89, v98, v22
	v_fma_f32 v76, v98, v23, -v91
	v_cvt_f64_f32_e32 v[22:23], v50
	v_cvt_f64_f32_e32 v[24:25], v24
	v_fmac_f32_e32 v77, v88, v28
	v_fma_f32 v59, v88, v29, -v79
	v_cvt_f64_f32_e32 v[26:27], v52
	v_cvt_f64_f32_e32 v[28:29], v49
	;; [unrolled: 4-line block ×5, first 2 shown]
	v_cvt_f64_f32_e32 v[46:47], v73
	v_cvt_f64_f32_e32 v[48:49], v57
	;; [unrolled: 1-line block ×14, first 2 shown]
	s_mov_b32 s1, 0x3f7e573a
	v_add_nc_u32_e32 v9, s4, v9
	v_mul_f64 v[10:11], v[10:11], s[0:1]
	v_mul_f64 v[12:13], v[12:13], s[0:1]
	v_mul_f64 v[14:15], v[14:15], s[0:1]
	v_mul_f64 v[16:17], v[16:17], s[0:1]
	v_mul_f64 v[18:19], v[18:19], s[0:1]
	v_mul_f64 v[20:21], v[20:21], s[0:1]
	v_mul_f64 v[22:23], v[22:23], s[0:1]
	v_mul_f64 v[24:25], v[24:25], s[0:1]
	v_mul_f64 v[26:27], v[26:27], s[0:1]
	v_mul_f64 v[28:29], v[28:29], s[0:1]
	v_mul_f64 v[30:31], v[30:31], s[0:1]
	v_mul_f64 v[32:33], v[32:33], s[0:1]
	v_mul_f64 v[34:35], v[34:35], s[0:1]
	v_mul_f64 v[36:37], v[36:37], s[0:1]
	v_mul_f64 v[42:43], v[42:43], s[0:1]
	v_mul_f64 v[44:45], v[44:45], s[0:1]
	v_mul_f64 v[46:47], v[46:47], s[0:1]
	v_mul_f64 v[48:49], v[48:49], s[0:1]
	v_mul_f64 v[50:51], v[50:51], s[0:1]
	v_mul_f64 v[52:53], v[52:53], s[0:1]
	v_mul_f64 v[54:55], v[54:55], s[0:1]
	v_mul_f64 v[56:57], v[56:57], s[0:1]
	v_mul_f64 v[58:59], v[58:59], s[0:1]
	v_mul_f64 v[72:73], v[72:73], s[0:1]
	v_mul_f64 v[74:75], v[74:75], s[0:1]
	v_mul_f64 v[76:77], v[76:77], s[0:1]
	v_mul_f64 v[78:79], v[78:79], s[0:1]
	v_mul_f64 v[80:81], v[80:81], s[0:1]
	v_mul_f64 v[82:83], v[82:83], s[0:1]
	v_mul_f64 v[84:85], v[84:85], s[0:1]
	v_cvt_f32_f64_e32 v10, v[10:11]
	v_cvt_f32_f64_e32 v11, v[12:13]
	;; [unrolled: 1-line block ×10, first 2 shown]
	v_add_co_u32 v38, vcc_lo, v8, s2
	v_cvt_f32_f64_e32 v20, v[30:31]
	v_cvt_f32_f64_e32 v21, v[32:33]
	;; [unrolled: 1-line block ×4, first 2 shown]
	v_add_co_ci_u32_e32 v39, vcc_lo, s3, v9, vcc_lo
	v_cvt_f32_f64_e32 v24, v[42:43]
	v_cvt_f32_f64_e32 v25, v[44:45]
	;; [unrolled: 1-line block ×6, first 2 shown]
	v_add_co_u32 v40, vcc_lo, v38, s2
	v_cvt_f32_f64_e32 v30, v[54:55]
	v_cvt_f32_f64_e32 v31, v[56:57]
	;; [unrolled: 1-line block ×4, first 2 shown]
	v_add_co_ci_u32_e32 v41, vcc_lo, s3, v39, vcc_lo
	v_cvt_f32_f64_e32 v34, v[74:75]
	v_cvt_f32_f64_e32 v35, v[76:77]
	;; [unrolled: 1-line block ×6, first 2 shown]
	v_add_co_u32 v44, vcc_lo, v40, s2
	v_add_co_ci_u32_e32 v45, vcc_lo, s3, v41, vcc_lo
	v_add_co_u32 v46, vcc_lo, v44, s2
	v_add_co_ci_u32_e32 v47, vcc_lo, s3, v45, vcc_lo
	global_store_dwordx2 v[60:61], v[10:11], off
	global_store_dwordx2 v[62:63], v[12:13], off
	;; [unrolled: 1-line block ×15, first 2 shown]
.LBB0_2:
	s_endpgm
	.section	.rodata,"a",@progbits
	.p2align	6, 0x0
	.amdhsa_kernel bluestein_single_fwd_len135_dim1_sp_op_CI_CI
		.amdhsa_group_segment_fixed_size 15120
		.amdhsa_private_segment_fixed_size 0
		.amdhsa_kernarg_size 104
		.amdhsa_user_sgpr_count 6
		.amdhsa_user_sgpr_private_segment_buffer 1
		.amdhsa_user_sgpr_dispatch_ptr 0
		.amdhsa_user_sgpr_queue_ptr 0
		.amdhsa_user_sgpr_kernarg_segment_ptr 1
		.amdhsa_user_sgpr_dispatch_id 0
		.amdhsa_user_sgpr_flat_scratch_init 0
		.amdhsa_user_sgpr_private_segment_size 0
		.amdhsa_wavefront_size32 1
		.amdhsa_uses_dynamic_stack 0
		.amdhsa_system_sgpr_private_segment_wavefront_offset 0
		.amdhsa_system_sgpr_workgroup_id_x 1
		.amdhsa_system_sgpr_workgroup_id_y 0
		.amdhsa_system_sgpr_workgroup_id_z 0
		.amdhsa_system_sgpr_workgroup_info 0
		.amdhsa_system_vgpr_workitem_id 0
		.amdhsa_next_free_vgpr 170
		.amdhsa_next_free_sgpr 20
		.amdhsa_reserve_vcc 1
		.amdhsa_reserve_flat_scratch 0
		.amdhsa_float_round_mode_32 0
		.amdhsa_float_round_mode_16_64 0
		.amdhsa_float_denorm_mode_32 3
		.amdhsa_float_denorm_mode_16_64 3
		.amdhsa_dx10_clamp 1
		.amdhsa_ieee_mode 1
		.amdhsa_fp16_overflow 0
		.amdhsa_workgroup_processor_mode 1
		.amdhsa_memory_ordered 1
		.amdhsa_forward_progress 0
		.amdhsa_shared_vgpr_count 0
		.amdhsa_exception_fp_ieee_invalid_op 0
		.amdhsa_exception_fp_denorm_src 0
		.amdhsa_exception_fp_ieee_div_zero 0
		.amdhsa_exception_fp_ieee_overflow 0
		.amdhsa_exception_fp_ieee_underflow 0
		.amdhsa_exception_fp_ieee_inexact 0
		.amdhsa_exception_int_div_zero 0
	.end_amdhsa_kernel
	.text
.Lfunc_end0:
	.size	bluestein_single_fwd_len135_dim1_sp_op_CI_CI, .Lfunc_end0-bluestein_single_fwd_len135_dim1_sp_op_CI_CI
                                        ; -- End function
	.section	.AMDGPU.csdata,"",@progbits
; Kernel info:
; codeLenInByte = 11012
; NumSgprs: 22
; NumVgprs: 170
; ScratchSize: 0
; MemoryBound: 0
; FloatMode: 240
; IeeeMode: 1
; LDSByteSize: 15120 bytes/workgroup (compile time only)
; SGPRBlocks: 2
; VGPRBlocks: 21
; NumSGPRsForWavesPerEU: 22
; NumVGPRsForWavesPerEU: 170
; Occupancy: 5
; WaveLimiterHint : 1
; COMPUTE_PGM_RSRC2:SCRATCH_EN: 0
; COMPUTE_PGM_RSRC2:USER_SGPR: 6
; COMPUTE_PGM_RSRC2:TRAP_HANDLER: 0
; COMPUTE_PGM_RSRC2:TGID_X_EN: 1
; COMPUTE_PGM_RSRC2:TGID_Y_EN: 0
; COMPUTE_PGM_RSRC2:TGID_Z_EN: 0
; COMPUTE_PGM_RSRC2:TIDIG_COMP_CNT: 0
	.text
	.p2alignl 6, 3214868480
	.fill 48, 4, 3214868480
	.type	__hip_cuid_fa7ae40247dc5303,@object ; @__hip_cuid_fa7ae40247dc5303
	.section	.bss,"aw",@nobits
	.globl	__hip_cuid_fa7ae40247dc5303
__hip_cuid_fa7ae40247dc5303:
	.byte	0                               ; 0x0
	.size	__hip_cuid_fa7ae40247dc5303, 1

	.ident	"AMD clang version 19.0.0git (https://github.com/RadeonOpenCompute/llvm-project roc-6.4.0 25133 c7fe45cf4b819c5991fe208aaa96edf142730f1d)"
	.section	".note.GNU-stack","",@progbits
	.addrsig
	.addrsig_sym __hip_cuid_fa7ae40247dc5303
	.amdgpu_metadata
---
amdhsa.kernels:
  - .args:
      - .actual_access:  read_only
        .address_space:  global
        .offset:         0
        .size:           8
        .value_kind:     global_buffer
      - .actual_access:  read_only
        .address_space:  global
        .offset:         8
        .size:           8
        .value_kind:     global_buffer
      - .actual_access:  read_only
        .address_space:  global
        .offset:         16
        .size:           8
        .value_kind:     global_buffer
      - .actual_access:  read_only
        .address_space:  global
        .offset:         24
        .size:           8
        .value_kind:     global_buffer
      - .actual_access:  read_only
        .address_space:  global
        .offset:         32
        .size:           8
        .value_kind:     global_buffer
      - .offset:         40
        .size:           8
        .value_kind:     by_value
      - .address_space:  global
        .offset:         48
        .size:           8
        .value_kind:     global_buffer
      - .address_space:  global
        .offset:         56
        .size:           8
        .value_kind:     global_buffer
      - .address_space:  global
        .offset:         64
        .size:           8
        .value_kind:     global_buffer
      - .address_space:  global
        .offset:         72
        .size:           8
        .value_kind:     global_buffer
      - .offset:         80
        .size:           4
        .value_kind:     by_value
      - .address_space:  global
        .offset:         88
        .size:           8
        .value_kind:     global_buffer
      - .address_space:  global
        .offset:         96
        .size:           8
        .value_kind:     global_buffer
    .group_segment_fixed_size: 15120
    .kernarg_segment_align: 8
    .kernarg_segment_size: 104
    .language:       OpenCL C
    .language_version:
      - 2
      - 0
    .max_flat_workgroup_size: 126
    .name:           bluestein_single_fwd_len135_dim1_sp_op_CI_CI
    .private_segment_fixed_size: 0
    .sgpr_count:     22
    .sgpr_spill_count: 0
    .symbol:         bluestein_single_fwd_len135_dim1_sp_op_CI_CI.kd
    .uniform_work_group_size: 1
    .uses_dynamic_stack: false
    .vgpr_count:     170
    .vgpr_spill_count: 0
    .wavefront_size: 32
    .workgroup_processor_mode: 1
amdhsa.target:   amdgcn-amd-amdhsa--gfx1030
amdhsa.version:
  - 1
  - 2
...

	.end_amdgpu_metadata
